;; amdgpu-corpus repo=ROCm/rocFFT kind=compiled arch=gfx1201 opt=O3
	.text
	.amdgcn_target "amdgcn-amd-amdhsa--gfx1201"
	.amdhsa_code_object_version 6
	.protected	fft_rtc_back_len270_factors_10_3_3_3_wgs_108_tpt_27_halfLds_half_op_CI_CI_unitstride_sbrr_R2C_dirReg ; -- Begin function fft_rtc_back_len270_factors_10_3_3_3_wgs_108_tpt_27_halfLds_half_op_CI_CI_unitstride_sbrr_R2C_dirReg
	.globl	fft_rtc_back_len270_factors_10_3_3_3_wgs_108_tpt_27_halfLds_half_op_CI_CI_unitstride_sbrr_R2C_dirReg
	.p2align	8
	.type	fft_rtc_back_len270_factors_10_3_3_3_wgs_108_tpt_27_halfLds_half_op_CI_CI_unitstride_sbrr_R2C_dirReg,@function
fft_rtc_back_len270_factors_10_3_3_3_wgs_108_tpt_27_halfLds_half_op_CI_CI_unitstride_sbrr_R2C_dirReg: ; @fft_rtc_back_len270_factors_10_3_3_3_wgs_108_tpt_27_halfLds_half_op_CI_CI_unitstride_sbrr_R2C_dirReg
; %bb.0:
	s_clause 0x2
	s_load_b128 s[8:11], s[0:1], 0x0
	s_load_b128 s[4:7], s[0:1], 0x58
	;; [unrolled: 1-line block ×3, first 2 shown]
	v_mul_u32_u24_e32 v1, 0x97c, v0
	v_mov_b32_e32 v3, 0
	v_mov_b32_e32 v11, 0
	;; [unrolled: 1-line block ×3, first 2 shown]
	s_delay_alu instid0(VALU_DEP_4) | instskip(NEXT) | instid1(VALU_DEP_4)
	v_lshrrev_b32_e32 v9, 16, v1
	v_mov_b32_e32 v8, v3
	s_delay_alu instid0(VALU_DEP_2) | instskip(SKIP_2) | instid1(VALU_DEP_1)
	v_lshl_add_u32 v7, ttmp9, 2, v9
	s_wait_kmcnt 0x0
	v_cmp_lt_u64_e64 s2, s[10:11], 2
	s_and_b32 vcc_lo, exec_lo, s2
	s_cbranch_vccnz .LBB0_8
; %bb.1:
	s_load_b64 s[2:3], s[0:1], 0x10
	v_mov_b32_e32 v11, 0
	v_mov_b32_e32 v12, 0
	s_delay_alu instid0(VALU_DEP_2)
	v_mov_b32_e32 v1, v11
	s_add_nc_u64 s[16:17], s[14:15], 8
	s_add_nc_u64 s[18:19], s[12:13], 8
	s_mov_b64 s[20:21], 1
	v_mov_b32_e32 v2, v12
	s_wait_kmcnt 0x0
	s_add_nc_u64 s[22:23], s[2:3], 8
	s_mov_b32 s3, 0
.LBB0_2:                                ; =>This Inner Loop Header: Depth=1
	s_load_b64 s[24:25], s[22:23], 0x0
                                        ; implicit-def: $vgpr5_vgpr6
	s_mov_b32 s2, exec_lo
	s_wait_kmcnt 0x0
	v_or_b32_e32 v4, s25, v8
	s_delay_alu instid0(VALU_DEP_1)
	v_cmpx_ne_u64_e32 0, v[3:4]
	s_wait_alu 0xfffe
	s_xor_b32 s26, exec_lo, s2
	s_cbranch_execz .LBB0_4
; %bb.3:                                ;   in Loop: Header=BB0_2 Depth=1
	s_cvt_f32_u32 s2, s24
	s_cvt_f32_u32 s27, s25
	s_sub_nc_u64 s[30:31], 0, s[24:25]
	s_wait_alu 0xfffe
	s_delay_alu instid0(SALU_CYCLE_1) | instskip(SKIP_1) | instid1(SALU_CYCLE_2)
	s_fmamk_f32 s2, s27, 0x4f800000, s2
	s_wait_alu 0xfffe
	v_s_rcp_f32 s2, s2
	s_delay_alu instid0(TRANS32_DEP_1) | instskip(SKIP_1) | instid1(SALU_CYCLE_2)
	s_mul_f32 s2, s2, 0x5f7ffffc
	s_wait_alu 0xfffe
	s_mul_f32 s27, s2, 0x2f800000
	s_wait_alu 0xfffe
	s_delay_alu instid0(SALU_CYCLE_2) | instskip(SKIP_1) | instid1(SALU_CYCLE_2)
	s_trunc_f32 s27, s27
	s_wait_alu 0xfffe
	s_fmamk_f32 s2, s27, 0xcf800000, s2
	s_cvt_u32_f32 s29, s27
	s_wait_alu 0xfffe
	s_delay_alu instid0(SALU_CYCLE_1) | instskip(SKIP_1) | instid1(SALU_CYCLE_2)
	s_cvt_u32_f32 s28, s2
	s_wait_alu 0xfffe
	s_mul_u64 s[34:35], s[30:31], s[28:29]
	s_wait_alu 0xfffe
	s_mul_hi_u32 s37, s28, s35
	s_mul_i32 s36, s28, s35
	s_mul_hi_u32 s2, s28, s34
	s_mul_i32 s33, s29, s34
	s_wait_alu 0xfffe
	s_add_nc_u64 s[36:37], s[2:3], s[36:37]
	s_mul_hi_u32 s27, s29, s34
	s_mul_hi_u32 s38, s29, s35
	s_add_co_u32 s2, s36, s33
	s_wait_alu 0xfffe
	s_add_co_ci_u32 s2, s37, s27
	s_mul_i32 s34, s29, s35
	s_add_co_ci_u32 s35, s38, 0
	s_wait_alu 0xfffe
	s_add_nc_u64 s[34:35], s[2:3], s[34:35]
	s_wait_alu 0xfffe
	v_add_co_u32 v4, s2, s28, s34
	s_delay_alu instid0(VALU_DEP_1) | instskip(SKIP_1) | instid1(VALU_DEP_1)
	s_cmp_lg_u32 s2, 0
	s_add_co_ci_u32 s29, s29, s35
	v_readfirstlane_b32 s28, v4
	s_wait_alu 0xfffe
	s_delay_alu instid0(VALU_DEP_1)
	s_mul_u64 s[30:31], s[30:31], s[28:29]
	s_wait_alu 0xfffe
	s_mul_hi_u32 s35, s28, s31
	s_mul_i32 s34, s28, s31
	s_mul_hi_u32 s2, s28, s30
	s_mul_i32 s33, s29, s30
	s_wait_alu 0xfffe
	s_add_nc_u64 s[34:35], s[2:3], s[34:35]
	s_mul_hi_u32 s27, s29, s30
	s_mul_hi_u32 s28, s29, s31
	s_wait_alu 0xfffe
	s_add_co_u32 s2, s34, s33
	s_add_co_ci_u32 s2, s35, s27
	s_mul_i32 s30, s29, s31
	s_add_co_ci_u32 s31, s28, 0
	s_wait_alu 0xfffe
	s_add_nc_u64 s[30:31], s[2:3], s[30:31]
	s_wait_alu 0xfffe
	v_add_co_u32 v6, s2, v4, s30
	s_delay_alu instid0(VALU_DEP_1) | instskip(SKIP_1) | instid1(VALU_DEP_1)
	s_cmp_lg_u32 s2, 0
	s_add_co_ci_u32 s2, s29, s31
	v_mul_hi_u32 v10, v7, v6
	s_wait_alu 0xfffe
	v_mad_co_u64_u32 v[4:5], null, v7, s2, 0
	v_mad_co_u64_u32 v[13:14], null, v8, v6, 0
	;; [unrolled: 1-line block ×3, first 2 shown]
	s_delay_alu instid0(VALU_DEP_3) | instskip(SKIP_1) | instid1(VALU_DEP_4)
	v_add_co_u32 v4, vcc_lo, v10, v4
	s_wait_alu 0xfffd
	v_add_co_ci_u32_e32 v5, vcc_lo, 0, v5, vcc_lo
	s_delay_alu instid0(VALU_DEP_2) | instskip(SKIP_1) | instid1(VALU_DEP_2)
	v_add_co_u32 v4, vcc_lo, v4, v13
	s_wait_alu 0xfffd
	v_add_co_ci_u32_e32 v4, vcc_lo, v5, v14, vcc_lo
	s_wait_alu 0xfffd
	v_add_co_ci_u32_e32 v5, vcc_lo, 0, v16, vcc_lo
	s_delay_alu instid0(VALU_DEP_2) | instskip(SKIP_1) | instid1(VALU_DEP_2)
	v_add_co_u32 v10, vcc_lo, v4, v15
	s_wait_alu 0xfffd
	v_add_co_ci_u32_e32 v6, vcc_lo, 0, v5, vcc_lo
	s_delay_alu instid0(VALU_DEP_2) | instskip(SKIP_1) | instid1(VALU_DEP_3)
	v_mul_lo_u32 v13, s25, v10
	v_mad_co_u64_u32 v[4:5], null, s24, v10, 0
	v_mul_lo_u32 v14, s24, v6
	s_delay_alu instid0(VALU_DEP_2) | instskip(NEXT) | instid1(VALU_DEP_2)
	v_sub_co_u32 v4, vcc_lo, v7, v4
	v_add3_u32 v5, v5, v14, v13
	s_delay_alu instid0(VALU_DEP_1) | instskip(SKIP_1) | instid1(VALU_DEP_1)
	v_sub_nc_u32_e32 v13, v8, v5
	s_wait_alu 0xfffd
	v_subrev_co_ci_u32_e64 v13, s2, s25, v13, vcc_lo
	v_add_co_u32 v14, s2, v10, 2
	s_wait_alu 0xf1ff
	v_add_co_ci_u32_e64 v15, s2, 0, v6, s2
	v_sub_co_u32 v16, s2, v4, s24
	v_sub_co_ci_u32_e32 v5, vcc_lo, v8, v5, vcc_lo
	s_wait_alu 0xf1ff
	v_subrev_co_ci_u32_e64 v13, s2, 0, v13, s2
	s_delay_alu instid0(VALU_DEP_3) | instskip(NEXT) | instid1(VALU_DEP_3)
	v_cmp_le_u32_e32 vcc_lo, s24, v16
	v_cmp_eq_u32_e64 s2, s25, v5
	s_wait_alu 0xfffd
	v_cndmask_b32_e64 v16, 0, -1, vcc_lo
	v_cmp_le_u32_e32 vcc_lo, s25, v13
	s_wait_alu 0xfffd
	v_cndmask_b32_e64 v17, 0, -1, vcc_lo
	v_cmp_le_u32_e32 vcc_lo, s24, v4
	;; [unrolled: 3-line block ×3, first 2 shown]
	s_wait_alu 0xfffd
	v_cndmask_b32_e64 v18, 0, -1, vcc_lo
	v_cmp_eq_u32_e32 vcc_lo, s25, v13
	s_wait_alu 0xf1ff
	s_delay_alu instid0(VALU_DEP_2)
	v_cndmask_b32_e64 v4, v18, v4, s2
	s_wait_alu 0xfffd
	v_cndmask_b32_e32 v13, v17, v16, vcc_lo
	v_add_co_u32 v16, vcc_lo, v10, 1
	s_wait_alu 0xfffd
	v_add_co_ci_u32_e32 v17, vcc_lo, 0, v6, vcc_lo
	s_delay_alu instid0(VALU_DEP_3) | instskip(SKIP_1) | instid1(VALU_DEP_2)
	v_cmp_ne_u32_e32 vcc_lo, 0, v13
	s_wait_alu 0xfffd
	v_cndmask_b32_e32 v5, v17, v15, vcc_lo
	v_cndmask_b32_e32 v13, v16, v14, vcc_lo
	v_cmp_ne_u32_e32 vcc_lo, 0, v4
	s_wait_alu 0xfffd
	s_delay_alu instid0(VALU_DEP_3) | instskip(NEXT) | instid1(VALU_DEP_3)
	v_cndmask_b32_e32 v6, v6, v5, vcc_lo
	v_cndmask_b32_e32 v5, v10, v13, vcc_lo
.LBB0_4:                                ;   in Loop: Header=BB0_2 Depth=1
	s_wait_alu 0xfffe
	s_and_not1_saveexec_b32 s2, s26
	s_cbranch_execz .LBB0_6
; %bb.5:                                ;   in Loop: Header=BB0_2 Depth=1
	v_cvt_f32_u32_e32 v4, s24
	s_sub_co_i32 s26, 0, s24
	s_delay_alu instid0(VALU_DEP_1) | instskip(NEXT) | instid1(TRANS32_DEP_1)
	v_rcp_iflag_f32_e32 v4, v4
	v_mul_f32_e32 v4, 0x4f7ffffe, v4
	s_delay_alu instid0(VALU_DEP_1) | instskip(SKIP_1) | instid1(VALU_DEP_1)
	v_cvt_u32_f32_e32 v4, v4
	s_wait_alu 0xfffe
	v_mul_lo_u32 v5, s26, v4
	s_delay_alu instid0(VALU_DEP_1) | instskip(NEXT) | instid1(VALU_DEP_1)
	v_mul_hi_u32 v5, v4, v5
	v_add_nc_u32_e32 v4, v4, v5
	s_delay_alu instid0(VALU_DEP_1) | instskip(NEXT) | instid1(VALU_DEP_1)
	v_mul_hi_u32 v4, v7, v4
	v_mul_lo_u32 v5, v4, s24
	v_add_nc_u32_e32 v6, 1, v4
	s_delay_alu instid0(VALU_DEP_2) | instskip(NEXT) | instid1(VALU_DEP_1)
	v_sub_nc_u32_e32 v5, v7, v5
	v_subrev_nc_u32_e32 v10, s24, v5
	v_cmp_le_u32_e32 vcc_lo, s24, v5
	s_wait_alu 0xfffd
	s_delay_alu instid0(VALU_DEP_2) | instskip(SKIP_1) | instid1(VALU_DEP_2)
	v_cndmask_b32_e32 v5, v5, v10, vcc_lo
	v_cndmask_b32_e32 v4, v4, v6, vcc_lo
	v_cmp_le_u32_e32 vcc_lo, s24, v5
	s_delay_alu instid0(VALU_DEP_2) | instskip(SKIP_1) | instid1(VALU_DEP_1)
	v_add_nc_u32_e32 v6, 1, v4
	s_wait_alu 0xfffd
	v_dual_cndmask_b32 v5, v4, v6 :: v_dual_mov_b32 v6, v3
.LBB0_6:                                ;   in Loop: Header=BB0_2 Depth=1
	s_wait_alu 0xfffe
	s_or_b32 exec_lo, exec_lo, s2
	s_delay_alu instid0(VALU_DEP_1) | instskip(NEXT) | instid1(VALU_DEP_2)
	v_mul_lo_u32 v4, v6, s24
	v_mul_lo_u32 v10, v5, s25
	s_load_b64 s[26:27], s[18:19], 0x0
	v_mad_co_u64_u32 v[13:14], null, v5, s24, 0
	s_load_b64 s[24:25], s[16:17], 0x0
	s_add_nc_u64 s[20:21], s[20:21], 1
	s_add_nc_u64 s[16:17], s[16:17], 8
	s_wait_alu 0xfffe
	v_cmp_ge_u64_e64 s2, s[20:21], s[10:11]
	s_add_nc_u64 s[18:19], s[18:19], 8
	s_add_nc_u64 s[22:23], s[22:23], 8
	v_add3_u32 v4, v14, v10, v4
	v_sub_co_u32 v7, vcc_lo, v7, v13
	s_wait_alu 0xfffd
	s_delay_alu instid0(VALU_DEP_2) | instskip(SKIP_2) | instid1(VALU_DEP_1)
	v_sub_co_ci_u32_e32 v4, vcc_lo, v8, v4, vcc_lo
	s_and_b32 vcc_lo, exec_lo, s2
	s_wait_kmcnt 0x0
	v_mul_lo_u32 v8, s26, v4
	v_mul_lo_u32 v10, s27, v7
	v_mad_co_u64_u32 v[11:12], null, s26, v7, v[11:12]
	v_mul_lo_u32 v4, s24, v4
	v_mul_lo_u32 v13, s25, v7
	v_mad_co_u64_u32 v[1:2], null, s24, v7, v[1:2]
	s_delay_alu instid0(VALU_DEP_4) | instskip(NEXT) | instid1(VALU_DEP_2)
	v_add3_u32 v12, v10, v12, v8
	v_add3_u32 v2, v13, v2, v4
	s_wait_alu 0xfffe
	s_cbranch_vccnz .LBB0_9
; %bb.7:                                ;   in Loop: Header=BB0_2 Depth=1
	v_dual_mov_b32 v8, v6 :: v_dual_mov_b32 v7, v5
	s_branch .LBB0_2
.LBB0_8:
	v_dual_mov_b32 v1, v11 :: v_dual_mov_b32 v2, v12
	v_dual_mov_b32 v5, v7 :: v_dual_mov_b32 v6, v8
.LBB0_9:
	s_load_b64 s[0:1], s[0:1], 0x28
	v_mul_hi_u32 v4, 0x97b425f, v0
	v_and_b32_e32 v8, 3, v9
	s_lshl_b64 s[10:11], s[10:11], 3
                                        ; implicit-def: $vgpr3
                                        ; implicit-def: $vgpr7
                                        ; implicit-def: $vgpr10
                                        ; implicit-def: $vgpr9
	s_wait_kmcnt 0x0
	v_cmp_gt_u64_e32 vcc_lo, s[0:1], v[5:6]
	v_cmp_le_u64_e64 s0, s[0:1], v[5:6]
	s_delay_alu instid0(VALU_DEP_1)
	s_and_saveexec_b32 s1, s0
	s_wait_alu 0xfffe
	s_xor_b32 s0, exec_lo, s1
; %bb.10:
	v_mul_u32_u24_e32 v3, 27, v4
                                        ; implicit-def: $vgpr4
                                        ; implicit-def: $vgpr11_vgpr12
	s_delay_alu instid0(VALU_DEP_1) | instskip(NEXT) | instid1(VALU_DEP_1)
	v_sub_nc_u32_e32 v3, v0, v3
                                        ; implicit-def: $vgpr0
	v_add_nc_u32_e32 v7, 27, v3
	v_add_nc_u32_e32 v10, 54, v3
	;; [unrolled: 1-line block ×3, first 2 shown]
; %bb.11:
	s_wait_alu 0xfffe
	s_or_saveexec_b32 s1, s0
	v_mul_u32_u24_e32 v8, 0x10f, v8
	s_add_nc_u64 s[2:3], s[14:15], s[10:11]
	s_delay_alu instid0(VALU_DEP_1)
	v_lshlrev_b32_e32 v26, 2, v8
	s_wait_alu 0xfffe
	s_xor_b32 exec_lo, exec_lo, s1
	s_cbranch_execz .LBB0_13
; %bb.12:
	s_add_nc_u64 s[10:11], s[12:13], s[10:11]
	s_load_b64 s[10:11], s[10:11], 0x0
	s_wait_kmcnt 0x0
	v_mul_lo_u32 v3, s11, v5
	v_mul_lo_u32 v9, s10, v6
	v_mad_co_u64_u32 v[7:8], null, s10, v5, 0
	s_delay_alu instid0(VALU_DEP_1) | instskip(SKIP_2) | instid1(VALU_DEP_3)
	v_add3_u32 v8, v8, v9, v3
	v_mul_u32_u24_e32 v3, 27, v4
	v_lshlrev_b64_e32 v[9:10], 2, v[11:12]
	v_lshlrev_b64_e32 v[7:8], 2, v[7:8]
	s_delay_alu instid0(VALU_DEP_3) | instskip(NEXT) | instid1(VALU_DEP_1)
	v_sub_nc_u32_e32 v3, v0, v3
	v_lshlrev_b32_e32 v11, 2, v3
	s_delay_alu instid0(VALU_DEP_3) | instskip(SKIP_1) | instid1(VALU_DEP_4)
	v_add_co_u32 v0, s0, s4, v7
	s_wait_alu 0xf1ff
	v_add_co_ci_u32_e64 v4, s0, s5, v8, s0
	s_delay_alu instid0(VALU_DEP_2) | instskip(SKIP_1) | instid1(VALU_DEP_2)
	v_add_co_u32 v0, s0, v0, v9
	s_wait_alu 0xf1ff
	v_add_co_ci_u32_e64 v4, s0, v4, v10, s0
	v_add_nc_u32_e32 v10, 54, v3
	s_delay_alu instid0(VALU_DEP_3) | instskip(SKIP_1) | instid1(VALU_DEP_3)
	v_add_co_u32 v7, s0, v0, v11
	s_wait_alu 0xf1ff
	v_add_co_ci_u32_e64 v8, s0, 0, v4, s0
	s_clause 0x9
	global_load_b32 v0, v[7:8], off
	global_load_b32 v4, v[7:8], off offset:108
	global_load_b32 v12, v[7:8], off offset:216
	;; [unrolled: 1-line block ×9, first 2 shown]
	v_add3_u32 v11, 0, v26, v11
	v_add_nc_u32_e32 v7, 27, v3
	v_add_nc_u32_e32 v9, 0x51, v3
	s_wait_loadcnt 0x8
	ds_store_2addr_b32 v11, v0, v4 offset1:27
	s_wait_loadcnt 0x6
	ds_store_2addr_b32 v11, v12, v13 offset0:54 offset1:81
	s_wait_loadcnt 0x4
	ds_store_2addr_b32 v11, v14, v15 offset0:108 offset1:135
	;; [unrolled: 2-line block ×4, first 2 shown]
.LBB0_13:
	s_or_b32 exec_lo, exec_lo, s1
	v_lshlrev_b32_e32 v4, 2, v3
	v_add_nc_u32_e32 v0, 0, v26
	s_load_b64 s[2:3], s[2:3], 0x0
	global_wb scope:SCOPE_SE
	s_wait_dscnt 0x0
	s_wait_kmcnt 0x0
	s_barrier_signal -1
	v_add3_u32 v8, 0, v4, v26
	s_barrier_wait -1
	global_inv scope:SCOPE_SE
	v_add_nc_u32_e32 v23, v0, v4
	v_cmp_gt_u32_e64 s0, 9, v3
	ds_load_2addr_b32 v[11:12], v8 offset0:81 offset1:108
	ds_load_2addr_b32 v[13:14], v8 offset0:135 offset1:162
	;; [unrolled: 1-line block ×4, first 2 shown]
	ds_load_b32 v21, v8 offset:972
	v_mad_u32_u24 v20, v3, 36, v8
	ds_load_b32 v19, v23
	global_wb scope:SCOPE_SE
	s_wait_dscnt 0x0
	s_barrier_signal -1
	s_barrier_wait -1
	global_inv scope:SCOPE_SE
	v_lshrrev_b32_e32 v27, 16, v12
	v_add_f16_e32 v22, v12, v14
	v_lshrrev_b32_e32 v24, 16, v16
	v_lshrrev_b32_e32 v25, 16, v18
	;; [unrolled: 1-line block ×3, first 2 shown]
	v_sub_f16_e32 v29, v18, v14
	v_sub_f16_e32 v30, v16, v12
	v_add_f16_e32 v31, v16, v18
	v_sub_f16_e32 v32, v14, v18
	v_sub_f16_e32 v33, v12, v16
	v_fma_f16 v22, -0.5, v22, v19
	v_sub_f16_e32 v37, v24, v25
	v_pk_add_f16 v34, v19, v16
	v_lshrrev_b32_e32 v35, 16, v19
	v_sub_f16_e32 v38, v27, v28
	v_add_f16_e32 v29, v30, v29
	v_fma_f16 v19, -0.5, v31, v19
	v_add_f16_e32 v30, v33, v32
	v_add_f16_e32 v31, v27, v28
	v_fmamk_f16 v32, v37, 0xbb9c, v22
	v_fmac_f16_e32 v22, 0x3b9c, v37
	v_sub_f16_e32 v16, v16, v18
	v_sub_f16_e32 v36, v12, v14
	v_fma_f16 v31, -0.5, v31, v35
	v_fmac_f16_e32 v32, 0xb8b4, v38
	v_fmac_f16_e32 v22, 0x38b4, v38
	v_pk_add_f16 v12, v34, v12
	v_fmamk_f16 v33, v38, 0x3b9c, v19
	v_sub_f16_e32 v34, v24, v27
	v_fmac_f16_e32 v19, 0xbb9c, v38
	v_fmamk_f16 v38, v16, 0x3b9c, v31
	v_fmac_f16_e32 v32, 0x34f2, v29
	v_fmac_f16_e32 v22, 0x34f2, v29
	v_sub_f16_e32 v29, v25, v28
	v_fmac_f16_e32 v31, 0xbb9c, v16
	v_pk_add_f16 v12, v12, v14
	v_fmac_f16_e32 v38, 0x38b4, v36
	v_fmac_f16_e32 v33, 0xb8b4, v37
	v_add_f16_e32 v14, v34, v29
	v_add_f16_e32 v29, v24, v25
	v_fmac_f16_e32 v31, 0xb8b4, v36
	v_pk_add_f16 v12, v12, v18
	v_lshrrev_b32_e32 v18, 16, v11
	v_fmac_f16_e32 v38, 0x34f2, v14
	v_fmac_f16_e32 v35, -0.5, v29
	v_fmac_f16_e32 v31, 0x34f2, v14
	v_add_f16_e32 v14, v13, v17
	v_lshrrev_b32_e32 v29, 16, v21
	v_fmac_f16_e32 v19, 0x38b4, v37
	v_sub_f16_e32 v24, v27, v24
	v_sub_f16_e32 v25, v28, v25
	v_fma_f16 v14, -0.5, v14, v15
	v_sub_f16_e32 v27, v18, v29
	v_lshrrev_b32_e32 v28, 16, v13
	v_lshrrev_b32_e32 v34, 16, v17
	v_fmac_f16_e32 v33, 0x34f2, v30
	v_fmac_f16_e32 v19, 0x34f2, v30
	v_fmamk_f16 v30, v36, 0xbb9c, v35
	v_add_f16_e32 v24, v24, v25
	v_fmac_f16_e32 v35, 0x3b9c, v36
	v_fmamk_f16 v25, v27, 0xbb9c, v14
	v_sub_f16_e32 v36, v28, v34
	v_sub_f16_e32 v37, v21, v17
	;; [unrolled: 1-line block ×3, first 2 shown]
	v_fmac_f16_e32 v14, 0x3b9c, v27
	v_add_f16_e32 v40, v11, v21
	v_fmac_f16_e32 v30, 0x38b4, v16
	v_fmac_f16_e32 v35, 0xb8b4, v16
	v_fmac_f16_e32 v25, 0xb8b4, v36
	v_add_f16_e32 v16, v39, v37
	v_fmac_f16_e32 v14, 0x38b4, v36
	v_fma_f16 v37, -0.5, v40, v15
	v_fmac_f16_e32 v30, 0x34f2, v24
	v_fmac_f16_e32 v35, 0x34f2, v24
	;; [unrolled: 1-line block ×4, first 2 shown]
	v_fmamk_f16 v16, v36, 0x3b9c, v37
	v_sub_f16_e32 v24, v17, v21
	v_sub_f16_e32 v39, v13, v11
	v_fmac_f16_e32 v37, 0xbb9c, v36
	v_add_f16_e32 v36, v28, v34
	v_lshrrev_b32_e32 v40, 16, v15
	v_fmac_f16_e32 v16, 0xb8b4, v27
	v_add_f16_e32 v24, v39, v24
	v_fmac_f16_e32 v37, 0x38b4, v27
	v_add_f16_e32 v27, v18, v29
	v_fma_f16 v36, -0.5, v36, v40
	v_sub_f16_e32 v39, v11, v21
	v_fmac_f16_e32 v16, 0x34f2, v24
	v_sub_f16_e32 v41, v13, v17
	v_fmac_f16_e32 v40, -0.5, v27
	v_fmac_f16_e32 v37, 0x34f2, v24
	v_fmamk_f16 v24, v39, 0x3b9c, v36
	v_sub_f16_e32 v27, v18, v28
	v_sub_f16_e32 v42, v29, v34
	v_fmamk_f16 v43, v41, 0xbb9c, v40
	v_sub_f16_e32 v18, v28, v18
	v_fmac_f16_e32 v24, 0x38b4, v41
	v_sub_f16_e32 v28, v34, v29
	v_add_f16_e32 v27, v27, v42
	v_fmac_f16_e32 v40, 0x3b9c, v41
	v_fmac_f16_e32 v36, 0xbb9c, v39
	v_pk_add_f16 v11, v15, v11
	v_fmac_f16_e32 v43, 0x38b4, v39
	v_fmac_f16_e32 v24, 0x34f2, v27
	v_add_f16_e32 v18, v18, v28
	v_fmac_f16_e32 v40, 0xb8b4, v39
	v_fmac_f16_e32 v36, 0xb8b4, v41
	v_pk_add_f16 v11, v11, v13
	v_mul_f16_e32 v13, 0xb8b4, v24
	v_fmac_f16_e32 v43, 0x34f2, v18
	v_fmac_f16_e32 v40, 0x34f2, v18
	;; [unrolled: 1-line block ×3, first 2 shown]
	v_pk_add_f16 v11, v11, v17
	v_fmac_f16_e32 v13, 0x3a79, v25
	v_mul_f16_e32 v25, 0x38b4, v25
	v_mul_f16_e32 v15, 0xbb9c, v43
	;; [unrolled: 1-line block ×7, first 2 shown]
	v_fmac_f16_e32 v25, 0x3a79, v24
	v_fmac_f16_e32 v15, 0x34f2, v16
	;; [unrolled: 1-line block ×7, first 2 shown]
	v_pk_add_f16 v11, v11, v21
	v_add_f16_e32 v21, v32, v13
	v_add_f16_e32 v24, v38, v25
	;; [unrolled: 1-line block ×8, first 2 shown]
	v_sub_f16_e32 v13, v32, v13
	v_sub_f16_e32 v15, v33, v15
	;; [unrolled: 1-line block ×8, first 2 shown]
	v_pk_add_f16 v16, v12, v11
	v_pack_b32_f16 v21, v21, v24
	v_pack_b32_f16 v24, v28, v40
	;; [unrolled: 1-line block ×3, first 2 shown]
	v_pk_add_f16 v11, v12, v11 neg_lo:[0,1] neg_hi:[0,1]
	v_pack_b32_f16 v12, v39, v41
	v_pack_b32_f16 v15, v15, v19
	;; [unrolled: 1-line block ×5, first 2 shown]
	ds_store_2addr_b32 v20, v16, v21 offset1:1
	ds_store_2addr_b32 v20, v25, v24 offset0:2 offset1:3
	ds_store_2addr_b32 v20, v12, v11 offset0:4 offset1:5
	;; [unrolled: 1-line block ×4, first 2 shown]
	v_lshl_add_u32 v25, v7, 2, v0
	v_lshl_add_u32 v24, v10, 2, v0
	global_wb scope:SCOPE_SE
	s_wait_dscnt 0x0
	s_barrier_signal -1
	s_barrier_wait -1
	global_inv scope:SCOPE_SE
	ds_load_2addr_b32 v[11:12], v8 offset0:90 offset1:117
	ds_load_2addr_b32 v[17:18], v8 offset0:144 offset1:180
	;; [unrolled: 1-line block ×3, first 2 shown]
	ds_load_b32 v32, v23
	ds_load_b32 v22, v25
	;; [unrolled: 1-line block ×3, first 2 shown]
	v_lshlrev_b32_e32 v27, 2, v9
                                        ; implicit-def: $vgpr13
                                        ; implicit-def: $vgpr20
                                        ; implicit-def: $vgpr28
	s_and_saveexec_b32 s1, s0
	s_cbranch_execz .LBB0_15
; %bb.14:
	s_delay_alu instid0(VALU_DEP_1)
	v_add3_u32 v13, 0, v27, v26
	v_add_nc_u32_e32 v19, 0x200, v8
	ds_load_b32 v14, v13
	ds_load_2addr_b32 v[19:20], v19 offset0:43 offset1:133
	s_wait_dscnt 0x1
	v_lshrrev_b32_e32 v29, 16, v14
	s_wait_dscnt 0x0
	v_lshrrev_b32_e32 v13, 16, v20
	v_lshrrev_b32_e32 v28, 16, v19
.LBB0_15:
	s_wait_alu 0xfffe
	s_or_b32 exec_lo, exec_lo, s1
	v_and_b32_e32 v31, 0xff, v3
	v_and_b32_e32 v33, 0xff, v7
	v_and_b32_e32 v30, 0xff, v10
	s_wait_dscnt 0x5
	v_lshrrev_b32_e32 v51, 16, v11
	s_wait_dscnt 0x4
	v_lshrrev_b32_e32 v52, 16, v18
	v_mul_lo_u16 v34, 0xcd, v31
	v_and_b32_e32 v31, 0xff, v9
	v_mul_lo_u16 v33, 0xcd, v33
	v_mul_lo_u16 v35, 0xcd, v30
	v_lshrrev_b32_e32 v53, 16, v12
	v_lshrrev_b16 v42, 11, v34
	v_mul_lo_u16 v34, 0xcd, v31
	v_lshrrev_b16 v43, 11, v33
	v_lshrrev_b16 v44, 11, v35
	s_wait_dscnt 0x3
	v_lshrrev_b32_e32 v54, 16, v15
	v_mul_lo_u16 v33, v42, 10
	v_lshrrev_b16 v34, 11, v34
	v_mul_lo_u16 v35, v43, 10
	v_mul_lo_u16 v36, v44, 10
	v_and_b32_e32 v42, 0xffff, v42
	v_sub_nc_u16 v33, v3, v33
	v_mul_lo_u16 v34, v34, 10
	v_sub_nc_u16 v35, v7, v35
	v_sub_nc_u16 v36, v10, v36
	v_and_b32_e32 v43, 0xffff, v43
	v_and_b32_e32 v45, 0xff, v33
	v_sub_nc_u16 v33, v9, v34
	v_and_b32_e32 v46, 0xff, v35
	v_and_b32_e32 v47, 0xff, v36
	;; [unrolled: 1-line block ×3, first 2 shown]
	v_lshlrev_b32_e32 v34, 3, v45
	v_and_b32_e32 v33, 0xff, v33
	v_lshlrev_b32_e32 v36, 3, v46
	v_lshlrev_b32_e32 v38, 3, v47
	v_mad_u32_u24 v42, 0x78, v42, 0
	global_load_b64 v[34:35], v34, s[8:9]
	v_lshlrev_b32_e32 v40, 3, v33
	v_mad_u32_u24 v43, 0x78, v43, 0
	s_clause 0x2
	global_load_b64 v[36:37], v36, s[8:9]
	global_load_b64 v[38:39], v38, s[8:9]
	global_load_b64 v[40:41], v40, s[8:9]
	v_lshlrev_b32_e32 v45, 2, v45
	v_lshlrev_b32_e32 v46, 2, v46
	v_mad_u32_u24 v44, 0x78, v44, 0
	v_lshlrev_b32_e32 v47, 2, v47
	v_lshrrev_b32_e32 v55, 16, v17
	v_add3_u32 v42, v42, v45, v26
	v_add3_u32 v43, v43, v46, v26
	v_lshrrev_b32_e32 v56, 16, v16
	v_add3_u32 v44, v44, v47, v26
	s_wait_dscnt 0x2
	v_lshrrev_b32_e32 v48, 16, v32
	s_wait_dscnt 0x1
	v_lshrrev_b32_e32 v49, 16, v22
	;; [unrolled: 2-line block ×3, first 2 shown]
	global_wb scope:SCOPE_SE
	s_wait_loadcnt 0x0
	s_barrier_signal -1
	s_barrier_wait -1
	global_inv scope:SCOPE_SE
	v_lshrrev_b32_e32 v45, 16, v34
	v_lshrrev_b32_e32 v46, 16, v35
	;; [unrolled: 1-line block ×8, first 2 shown]
	v_mul_f16_e32 v62, v45, v51
	v_mul_f16_e32 v45, v45, v11
	;; [unrolled: 1-line block ×16, first 2 shown]
	v_fmac_f16_e32 v62, v34, v11
	v_fma_f16 v11, v34, v51, -v45
	v_fmac_f16_e32 v63, v35, v18
	v_fma_f16 v18, v35, v52, -v46
	;; [unrolled: 2-line block ×8, first 2 shown]
	v_add_f16_e32 v28, v62, v63
	v_sub_f16_e32 v34, v11, v18
	v_add_f16_e32 v35, v48, v11
	v_add_f16_e32 v11, v11, v18
	v_add_f16_e32 v38, v64, v65
	v_sub_f16_e32 v39, v12, v15
	v_add_f16_e32 v40, v49, v12
	v_add_f16_e32 v12, v12, v15
	v_add_f16_e32 v46, v66, v67
	v_sub_f16_e32 v47, v17, v16
	v_add_f16_e32 v51, v50, v17
	v_add_f16_e32 v17, v17, v16
	v_add_f16_e32 v20, v32, v62
	v_sub_f16_e32 v36, v62, v63
	v_add_f16_e32 v37, v22, v64
	v_add_f16_e32 v45, v21, v66
	v_add_f16_e32 v54, v68, v69
	v_sub_f16_e32 v55, v19, v13
	v_add_f16_e32 v56, v29, v19
	v_add_f16_e32 v19, v19, v13
	v_fmac_f16_e32 v32, -0.5, v28
	v_fmac_f16_e32 v48, -0.5, v11
	v_sub_f16_e32 v41, v64, v65
	v_fmac_f16_e32 v22, -0.5, v38
	v_fmac_f16_e32 v49, -0.5, v12
	v_sub_f16_e32 v52, v66, v67
	v_fmac_f16_e32 v21, -0.5, v46
	v_fmac_f16_e32 v50, -0.5, v17
	v_add_f16_e32 v53, v14, v68
	v_sub_f16_e32 v57, v68, v69
	v_add_f16_e32 v20, v20, v63
	v_add_f16_e32 v18, v35, v18
	;; [unrolled: 1-line block ×6, first 2 shown]
	v_fmac_f16_e32 v14, -0.5, v54
	v_fmac_f16_e32 v29, -0.5, v19
	v_fmamk_f16 v17, v34, 0xbaee, v32
	v_fmamk_f16 v19, v36, 0x3aee, v48
	v_fmac_f16_e32 v32, 0x3aee, v34
	v_fmac_f16_e32 v48, 0xbaee, v36
	v_fmamk_f16 v36, v39, 0xbaee, v22
	v_fmamk_f16 v37, v41, 0x3aee, v49
	v_fmac_f16_e32 v22, 0x3aee, v39
	v_fmac_f16_e32 v49, 0xbaee, v41
	v_fmamk_f16 v38, v47, 0xbaee, v21
	v_fmamk_f16 v39, v52, 0x3aee, v50
	v_add_f16_e32 v12, v53, v69
	v_add_f16_e32 v28, v56, v13
	v_fmac_f16_e32 v21, 0x3aee, v47
	v_fmac_f16_e32 v50, 0xbaee, v52
	v_fmamk_f16 v13, v55, 0xbaee, v14
	v_fmac_f16_e32 v14, 0x3aee, v55
	v_fmamk_f16 v34, v57, 0x3aee, v29
	v_fmac_f16_e32 v29, 0xbaee, v57
	v_pack_b32_f16 v18, v20, v18
	v_pack_b32_f16 v11, v11, v15
	;; [unrolled: 1-line block ×9, first 2 shown]
	ds_store_2addr_b32 v42, v18, v16 offset1:10
	ds_store_b32 v42, v17 offset:80
	ds_store_2addr_b32 v43, v11, v19 offset1:10
	ds_store_b32 v43, v20 offset:80
	;; [unrolled: 2-line block ×3, first 2 shown]
	s_and_saveexec_b32 s1, s0
	s_cbranch_execz .LBB0_17
; %bb.16:
	v_lshlrev_b32_e32 v11, 2, v33
	v_perm_b32 v15, v28, v12, 0x5040100
	v_perm_b32 v16, v34, v13, 0x5040100
	;; [unrolled: 1-line block ×3, first 2 shown]
	s_delay_alu instid0(VALU_DEP_4)
	v_add3_u32 v11, 0, v11, v26
	ds_store_2addr_b32 v11, v15, v16 offset0:240 offset1:250
	ds_store_b32 v11, v17 offset:1040
.LBB0_17:
	s_wait_alu 0xfffe
	s_or_b32 exec_lo, exec_lo, s1
	global_wb scope:SCOPE_SE
	s_wait_dscnt 0x0
	s_barrier_signal -1
	s_barrier_wait -1
	global_inv scope:SCOPE_SE
	ds_load_2addr_b32 v[21:22], v8 offset0:90 offset1:117
	ds_load_2addr_b32 v[17:18], v8 offset0:144 offset1:180
	;; [unrolled: 1-line block ×3, first 2 shown]
	ds_load_b32 v11, v23
	ds_load_b32 v33, v25
	ds_load_b32 v32, v24
	s_and_saveexec_b32 s1, s0
	s_cbranch_execz .LBB0_19
; %bb.18:
	v_add3_u32 v12, 0, v27, v26
	v_add_nc_u32_e32 v13, 0x200, v8
	ds_load_b32 v12, v12
	ds_load_2addr_b32 v[13:14], v13 offset0:43 offset1:133
	s_wait_dscnt 0x1
	v_lshrrev_b32_e32 v28, 16, v12
	s_wait_dscnt 0x0
	v_lshrrev_b32_e32 v29, 16, v14
	v_lshrrev_b32_e32 v34, 16, v13
.LBB0_19:
	s_wait_alu 0xfffe
	s_or_b32 exec_lo, exec_lo, s1
	v_dual_mov_b32 v36, 0 :: v_dual_lshlrev_b32 v35, 1, v3
	v_mul_lo_u16 v30, 0x89, v30
	v_add_nc_u32_e32 v37, -3, v3
	v_mul_lo_u16 v31, 0x89, v31
	v_cmp_gt_u32_e64 s1, 3, v3
	v_lshlrev_b64_e32 v[15:16], 2, v[35:36]
	v_lshrrev_b16 v44, 12, v30
	s_wait_dscnt 0x5
	v_lshrrev_b32_e32 v49, 16, v21
	v_lshrrev_b16 v30, 12, v31
	s_wait_alu 0xf1ff
	v_cndmask_b32_e64 v43, v37, v7, s1
	s_wait_dscnt 0x4
	v_lshrrev_b32_e32 v50, 16, v18
	v_add_co_u32 v15, s1, s8, v15
	v_mul_lo_u16 v31, v44, 30
	v_mul_lo_u16 v30, v30, 30
	v_lshlrev_b32_e32 v35, 1, v43
	s_wait_alu 0xf1ff
	v_add_co_ci_u32_e64 v16, s1, s9, v16, s1
	v_sub_nc_u16 v31, v10, v31
	v_sub_nc_u16 v30, v9, v30
	v_lshlrev_b64_e32 v[35:36], 2, v[35:36]
	global_load_b64 v[37:38], v[15:16], off offset:80
	v_lshlrev_b32_e32 v43, 2, v43
	v_and_b32_e32 v31, 0xff, v31
	v_and_b32_e32 v30, 0xff, v30
	;; [unrolled: 1-line block ×3, first 2 shown]
	v_add_co_u32 v35, s1, s8, v35
	s_wait_alu 0xf1ff
	v_add_co_ci_u32_e64 v36, s1, s9, v36, s1
	v_lshlrev_b32_e32 v39, 3, v31
	v_lshlrev_b32_e32 v41, 3, v30
	s_clause 0x2
	global_load_b64 v[35:36], v[35:36], off offset:80
	global_load_b64 v[39:40], v39, s[8:9] offset:80
	global_load_b64 v[41:42], v41, s[8:9] offset:80
	v_cmp_lt_u32_e64 s1, 2, v3
	v_mad_u32_u24 v44, 0x168, v44, 0
	v_lshlrev_b32_e32 v31, 2, v31
	v_lshrrev_b32_e32 v51, 16, v22
	s_wait_dscnt 0x3
	v_lshrrev_b32_e32 v52, 16, v19
	s_wait_alu 0xf1ff
	v_cndmask_b32_e64 v47, 0, 0x168, s1
	s_wait_dscnt 0x2
	v_lshrrev_b32_e32 v45, 16, v11
	v_lshrrev_b32_e32 v53, 16, v17
	;; [unrolled: 1-line block ×3, first 2 shown]
	v_add3_u32 v31, v44, v31, v26
	v_add_nc_u32_e32 v47, 0, v47
	s_wait_dscnt 0x1
	v_lshrrev_b32_e32 v46, 16, v33
	s_wait_dscnt 0x0
	v_lshrrev_b32_e32 v48, 16, v32
	global_wb scope:SCOPE_SE
	s_wait_loadcnt 0x0
	s_barrier_signal -1
	v_add3_u32 v43, v47, v43, v26
	s_barrier_wait -1
	global_inv scope:SCOPE_SE
	v_lshrrev_b32_e32 v47, 16, v37
	v_lshrrev_b32_e32 v55, 16, v38
	s_delay_alu instid0(VALU_DEP_2) | instskip(SKIP_1) | instid1(VALU_DEP_3)
	v_mul_f16_e32 v56, v47, v49
	v_mul_f16_e32 v47, v47, v21
	;; [unrolled: 1-line block ×4, first 2 shown]
	s_delay_alu instid0(VALU_DEP_4) | instskip(NEXT) | instid1(VALU_DEP_4)
	v_fmac_f16_e32 v56, v37, v21
	v_fma_f16 v21, v37, v49, -v47
	s_delay_alu instid0(VALU_DEP_4) | instskip(NEXT) | instid1(VALU_DEP_4)
	v_fmac_f16_e32 v57, v38, v18
	v_fma_f16 v18, v38, v50, -v55
	v_lshrrev_b32_e32 v37, 16, v35
	v_lshrrev_b32_e32 v38, 16, v36
	;; [unrolled: 1-line block ×6, first 2 shown]
	v_mul_f16_e32 v55, v37, v51
	v_mul_f16_e32 v37, v37, v22
	;; [unrolled: 1-line block ×4, first 2 shown]
	v_add_f16_e32 v60, v56, v57
	v_sub_f16_e32 v61, v21, v18
	v_add_f16_e32 v62, v45, v21
	v_add_f16_e32 v21, v21, v18
	v_mul_f16_e32 v63, v44, v53
	v_mul_f16_e32 v44, v44, v17
	;; [unrolled: 1-line block ×8, first 2 shown]
	v_fmac_f16_e32 v55, v35, v22
	v_fma_f16 v22, v35, v51, -v37
	v_fmac_f16_e32 v58, v36, v19
	v_fma_f16 v19, v36, v52, -v38
	v_add_f16_e32 v59, v11, v56
	v_sub_f16_e32 v56, v56, v57
	v_fmac_f16_e32 v11, -0.5, v60
	v_fmac_f16_e32 v45, -0.5, v21
	v_fmac_f16_e32 v63, v39, v17
	v_fma_f16 v17, v39, v53, -v44
	v_fmac_f16_e32 v64, v40, v20
	v_fma_f16 v20, v40, v54, -v47
	;; [unrolled: 2-line block ×4, first 2 shown]
	v_add_f16_e32 v36, v55, v58
	v_sub_f16_e32 v37, v22, v19
	v_add_f16_e32 v38, v46, v22
	v_add_f16_e32 v22, v22, v19
	;; [unrolled: 1-line block ×4, first 2 shown]
	v_fmamk_f16 v21, v61, 0xbaee, v11
	v_fmamk_f16 v29, v56, 0x3aee, v45
	v_add_f16_e32 v34, v33, v55
	v_add_f16_e32 v40, v63, v64
	v_sub_f16_e32 v41, v17, v20
	v_add_f16_e32 v42, v48, v17
	v_add_f16_e32 v17, v17, v20
	v_fmac_f16_e32 v11, 0x3aee, v61
	v_fmac_f16_e32 v45, 0xbaee, v56
	v_sub_f16_e32 v39, v55, v58
	v_add_f16_e32 v49, v65, v66
	v_sub_f16_e32 v50, v13, v14
	v_add_f16_e32 v51, v28, v13
	v_add_f16_e32 v13, v13, v14
	v_fmac_f16_e32 v33, -0.5, v36
	v_fmac_f16_e32 v46, -0.5, v22
	v_pack_b32_f16 v18, v35, v18
	v_add_f16_e32 v35, v32, v63
	v_sub_f16_e32 v44, v63, v64
	v_add_f16_e32 v34, v34, v58
	v_add_f16_e32 v19, v38, v19
	v_pack_b32_f16 v29, v21, v29
	v_fmac_f16_e32 v32, -0.5, v40
	v_fmac_f16_e32 v48, -0.5, v17
	v_pack_b32_f16 v11, v11, v45
	v_add_f16_e32 v47, v12, v65
	v_sub_f16_e32 v52, v65, v66
	v_fmac_f16_e32 v12, -0.5, v49
	v_add_f16_e32 v22, v51, v14
	v_fmac_f16_e32 v28, -0.5, v13
	v_fmamk_f16 v13, v37, 0xbaee, v33
	v_fmamk_f16 v14, v39, 0x3aee, v46
	v_fmac_f16_e32 v33, 0x3aee, v37
	v_fmac_f16_e32 v46, 0xbaee, v39
	v_add_f16_e32 v35, v35, v64
	v_add_f16_e32 v20, v42, v20
	ds_store_2addr_b32 v8, v18, v29 offset1:30
	ds_store_b32 v8, v11 offset:240
	v_pack_b32_f16 v17, v34, v19
	v_fmamk_f16 v18, v41, 0xbaee, v32
	v_fmamk_f16 v19, v44, 0x3aee, v48
	v_fmac_f16_e32 v32, 0x3aee, v41
	v_fmac_f16_e32 v48, 0xbaee, v44
	v_add_f16_e32 v21, v47, v66
	v_fmamk_f16 v11, v50, 0xbaee, v12
	v_fmac_f16_e32 v12, 0x3aee, v50
	v_fmamk_f16 v29, v52, 0x3aee, v28
	v_pack_b32_f16 v13, v13, v14
	v_fmac_f16_e32 v28, 0xbaee, v52
	v_pack_b32_f16 v14, v33, v46
	v_pack_b32_f16 v20, v35, v20
	;; [unrolled: 1-line block ×4, first 2 shown]
	ds_store_2addr_b32 v43, v17, v13 offset1:30
	ds_store_b32 v43, v14 offset:240
	ds_store_2addr_b32 v31, v20, v18 offset1:30
	ds_store_b32 v31, v19 offset:240
	s_and_saveexec_b32 s1, s0
	s_cbranch_execz .LBB0_21
; %bb.20:
	v_lshlrev_b32_e32 v13, 2, v30
	v_perm_b32 v14, v22, v21, 0x5040100
	v_perm_b32 v17, v29, v11, 0x5040100
	;; [unrolled: 1-line block ×3, first 2 shown]
	s_delay_alu instid0(VALU_DEP_4)
	v_add3_u32 v13, 0, v13, v26
	ds_store_2addr_b32 v13, v14, v17 offset0:180 offset1:210
	ds_store_b32 v13, v18 offset:960
.LBB0_21:
	s_wait_alu 0xfffe
	s_or_b32 exec_lo, exec_lo, s1
	global_wb scope:SCOPE_SE
	s_wait_dscnt 0x0
	s_barrier_signal -1
	s_barrier_wait -1
	global_inv scope:SCOPE_SE
	ds_load_2addr_b32 v[19:20], v8 offset0:90 offset1:117
	ds_load_2addr_b32 v[13:14], v8 offset0:144 offset1:180
	;; [unrolled: 1-line block ×3, first 2 shown]
	ds_load_b32 v32, v23
	ds_load_b32 v31, v25
	;; [unrolled: 1-line block ×3, first 2 shown]
	s_and_saveexec_b32 s1, s0
	s_cbranch_execz .LBB0_23
; %bb.22:
	v_add3_u32 v11, 0, v27, v26
	v_add_nc_u32_e32 v12, 0x200, v8
	ds_load_b32 v21, v11
	ds_load_2addr_b32 v[11:12], v12 offset0:43 offset1:133
	s_wait_dscnt 0x1
	v_lshrrev_b32_e32 v22, 16, v21
	s_wait_dscnt 0x0
	v_lshrrev_b32_e32 v28, 16, v12
	v_lshrrev_b32_e32 v29, 16, v11
.LBB0_23:
	s_wait_alu 0xfffe
	s_or_b32 exec_lo, exec_lo, s1
	global_load_b64 v[26:27], v[15:16], off offset:320
	v_dual_mov_b32 v16, 0 :: v_dual_lshlrev_b32 v15, 1, v7
	s_wait_dscnt 0x5
	v_lshrrev_b32_e32 v42, 16, v19
	s_wait_dscnt 0x4
	v_lshrrev_b32_e32 v44, 16, v14
	;; [unrolled: 2-line block ×3, first 2 shown]
	v_lshrrev_b32_e32 v46, 16, v20
	v_lshlrev_b64_e32 v[33:34], 2, v[15:16]
	v_lshlrev_b32_e32 v15, 1, v10
	v_lshrrev_b32_e32 v39, 16, v18
	v_lshrrev_b32_e32 v40, 16, v13
	s_wait_dscnt 0x1
	v_lshrrev_b32_e32 v37, 16, v31
	s_wait_dscnt 0x0
	v_lshrrev_b32_e32 v38, 16, v30
	v_lshlrev_b64_e32 v[35:36], 2, v[15:16]
	v_add_co_u32 v33, s1, s8, v33
	s_wait_alu 0xf1ff
	v_add_co_ci_u32_e64 v34, s1, s9, v34, s1
	v_lshrrev_b32_e32 v15, 16, v32
	s_delay_alu instid0(VALU_DEP_4)
	v_add_co_u32 v35, s1, s8, v35
	global_load_b64 v[33:34], v[33:34], off offset:320
	s_wait_alu 0xf1ff
	v_add_co_ci_u32_e64 v36, s1, s9, v36, s1
	global_load_b64 v[35:36], v[35:36], off offset:320
	global_wb scope:SCOPE_SE
	s_wait_loadcnt 0x0
	s_barrier_signal -1
	s_barrier_wait -1
	global_inv scope:SCOPE_SE
	v_lshrrev_b32_e32 v43, 16, v26
	v_lshrrev_b32_e32 v45, 16, v27
	s_delay_alu instid0(VALU_DEP_2) | instskip(SKIP_1) | instid1(VALU_DEP_3)
	v_mul_f16_e32 v47, v43, v42
	v_mul_f16_e32 v43, v43, v19
	;; [unrolled: 1-line block ×4, first 2 shown]
	s_delay_alu instid0(VALU_DEP_4) | instskip(NEXT) | instid1(VALU_DEP_4)
	v_fmac_f16_e32 v47, v26, v19
	v_fma_f16 v19, v26, v42, -v43
	s_delay_alu instid0(VALU_DEP_4) | instskip(NEXT) | instid1(VALU_DEP_4)
	v_fmac_f16_e32 v48, v27, v14
	v_fma_f16 v14, v27, v44, -v45
	s_delay_alu instid0(VALU_DEP_4) | instskip(NEXT) | instid1(VALU_DEP_4)
	v_add_f16_e32 v26, v32, v47
	v_add_f16_e32 v43, v15, v19
	s_delay_alu instid0(VALU_DEP_4) | instskip(NEXT) | instid1(VALU_DEP_4)
	v_add_f16_e32 v27, v47, v48
	v_sub_f16_e32 v42, v19, v14
	v_add_f16_e32 v19, v19, v14
	v_sub_f16_e32 v44, v47, v48
	v_lshrrev_b32_e32 v45, 16, v33
	v_lshrrev_b32_e32 v47, 16, v34
	v_add_f16_e32 v26, v26, v48
	v_fmac_f16_e32 v32, -0.5, v27
	v_add_f16_e32 v14, v43, v14
	v_fmac_f16_e32 v15, -0.5, v19
	v_mul_f16_e32 v19, v45, v46
	v_mul_f16_e32 v27, v45, v20
	;; [unrolled: 1-line block ×4, first 2 shown]
	v_lshrrev_b32_e32 v47, 16, v35
	v_lshrrev_b32_e32 v48, 16, v36
	v_fmamk_f16 v49, v42, 0xbaee, v32
	v_fmac_f16_e32 v32, 0x3aee, v42
	v_fmamk_f16 v42, v44, 0x3aee, v15
	v_fmac_f16_e32 v15, 0xbaee, v44
	v_pack_b32_f16 v14, v26, v14
	v_fmac_f16_e32 v19, v33, v20
	v_fma_f16 v20, v33, v46, -v27
	v_fmac_f16_e32 v43, v34, v17
	v_fma_f16 v17, v34, v41, -v45
	v_mul_f16_e32 v26, v47, v40
	v_mul_f16_e32 v27, v47, v13
	;; [unrolled: 1-line block ×4, first 2 shown]
	v_pack_b32_f16 v41, v49, v42
	v_pack_b32_f16 v15, v32, v15
	v_fmac_f16_e32 v26, v35, v13
	v_fma_f16 v13, v35, v40, -v27
	v_fmac_f16_e32 v33, v36, v18
	v_fma_f16 v18, v36, v39, -v34
	v_add_f16_e32 v27, v31, v19
	v_add_f16_e32 v32, v19, v43
	;; [unrolled: 1-line block ×3, first 2 shown]
	v_sub_f16_e32 v34, v20, v17
	v_add_f16_e32 v20, v20, v17
	ds_store_2addr_b32 v8, v14, v41 offset1:90
	v_add_f16_e32 v14, v27, v43
	v_fmac_f16_e32 v31, -0.5, v32
	v_add_f16_e32 v17, v35, v17
	v_add_f16_e32 v27, v26, v33
	v_sub_f16_e32 v32, v13, v18
	v_add_f16_e32 v35, v38, v13
	v_add_f16_e32 v13, v13, v18
	v_sub_f16_e32 v19, v19, v43
	v_fmac_f16_e32 v37, -0.5, v20
	v_add_f16_e32 v20, v30, v26
	v_sub_f16_e32 v26, v26, v33
	v_fmac_f16_e32 v30, -0.5, v27
	v_fmac_f16_e32 v38, -0.5, v13
	v_fmamk_f16 v36, v34, 0xbaee, v31
	v_fmac_f16_e32 v31, 0x3aee, v34
	v_fmamk_f16 v34, v19, 0x3aee, v37
	v_fmac_f16_e32 v37, 0xbaee, v19
	v_add_f16_e32 v19, v20, v33
	v_add_f16_e32 v13, v35, v18
	v_pack_b32_f16 v14, v14, v17
	v_fmamk_f16 v17, v32, 0xbaee, v30
	v_fmamk_f16 v18, v26, 0x3aee, v38
	v_fmac_f16_e32 v30, 0x3aee, v32
	v_fmac_f16_e32 v38, 0xbaee, v26
	v_pack_b32_f16 v20, v36, v34
	v_pack_b32_f16 v26, v31, v37
	;; [unrolled: 1-line block ×5, first 2 shown]
	ds_store_b32 v8, v15 offset:720
	ds_store_2addr_b32 v25, v14, v20 offset1:90
	ds_store_b32 v25, v26 offset:720
	ds_store_2addr_b32 v24, v13, v17 offset1:90
	ds_store_b32 v24, v18 offset:720
	s_and_saveexec_b32 s1, s0
	s_cbranch_execz .LBB0_25
; %bb.24:
	v_add_nc_u32_e32 v13, -9, v3
	s_delay_alu instid0(VALU_DEP_1) | instskip(NEXT) | instid1(VALU_DEP_1)
	v_cndmask_b32_e64 v13, v13, v9, s0
	v_lshlrev_b32_e32 v15, 1, v13
	s_delay_alu instid0(VALU_DEP_1) | instskip(NEXT) | instid1(VALU_DEP_1)
	v_lshlrev_b64_e32 v[13:14], 2, v[15:16]
	v_add_co_u32 v13, s0, s8, v13
	s_wait_alu 0xf1ff
	s_delay_alu instid0(VALU_DEP_2) | instskip(SKIP_4) | instid1(VALU_DEP_2)
	v_add_co_ci_u32_e64 v14, s0, s9, v14, s0
	global_load_b64 v[13:14], v[13:14], off offset:320
	s_wait_loadcnt 0x0
	v_lshrrev_b32_e32 v15, 16, v13
	v_lshrrev_b32_e32 v16, 16, v14
	v_mul_f16_e32 v17, v11, v15
	s_delay_alu instid0(VALU_DEP_2) | instskip(SKIP_2) | instid1(VALU_DEP_4)
	v_mul_f16_e32 v18, v12, v16
	v_mul_f16_e32 v15, v29, v15
	;; [unrolled: 1-line block ×3, first 2 shown]
	v_fma_f16 v17, v29, v13, -v17
	s_delay_alu instid0(VALU_DEP_4) | instskip(NEXT) | instid1(VALU_DEP_4)
	v_fma_f16 v18, v28, v14, -v18
	v_fmac_f16_e32 v15, v11, v13
	s_delay_alu instid0(VALU_DEP_4) | instskip(NEXT) | instid1(VALU_DEP_4)
	v_fmac_f16_e32 v16, v12, v14
	v_add_f16_e32 v14, v22, v17
	s_delay_alu instid0(VALU_DEP_4) | instskip(SKIP_1) | instid1(VALU_DEP_4)
	v_add_f16_e32 v11, v17, v18
	v_sub_f16_e32 v17, v17, v18
	v_add_f16_e32 v13, v15, v16
	v_sub_f16_e32 v12, v15, v16
	v_add_f16_e32 v15, v21, v15
	v_fma_f16 v11, -0.5, v11, v22
	v_add_f16_e32 v14, v14, v18
	v_fma_f16 v13, -0.5, v13, v21
	s_delay_alu instid0(VALU_DEP_4) | instskip(NEXT) | instid1(VALU_DEP_4)
	v_add_f16_e32 v15, v15, v16
	v_fmamk_f16 v16, v12, 0xbaee, v11
	v_fmac_f16_e32 v11, 0x3aee, v12
	s_delay_alu instid0(VALU_DEP_4) | instskip(SKIP_2) | instid1(VALU_DEP_3)
	v_fmamk_f16 v12, v17, 0x3aee, v13
	v_fmac_f16_e32 v13, 0xbaee, v17
	v_pack_b32_f16 v14, v15, v14
	v_pack_b32_f16 v12, v12, v16
	s_delay_alu instid0(VALU_DEP_3)
	v_pack_b32_f16 v11, v13, v11
	ds_store_2addr_b32 v8, v14, v11 offset0:81 offset1:171
	ds_store_b32 v8, v12 offset:1044
.LBB0_25:
	s_wait_alu 0xfffe
	s_or_b32 exec_lo, exec_lo, s1
	global_wb scope:SCOPE_SE
	s_wait_dscnt 0x0
	s_barrier_signal -1
	s_barrier_wait -1
	global_inv scope:SCOPE_SE
	ds_load_b32 v8, v23
	v_sub_nc_u32_e32 v14, v0, v4
	s_mov_b32 s1, exec_lo
                                        ; implicit-def: $vgpr16
                                        ; implicit-def: $vgpr15
                                        ; implicit-def: $vgpr12_vgpr13
	s_wait_dscnt 0x0
	v_lshrrev_b32_e32 v11, 16, v8
	v_cmpx_ne_u32_e32 0, v3
	s_wait_alu 0xfffe
	s_xor_b32 s1, exec_lo, s1
	s_cbranch_execz .LBB0_27
; %bb.26:
	v_mov_b32_e32 v4, 0
	s_delay_alu instid0(VALU_DEP_1) | instskip(NEXT) | instid1(VALU_DEP_1)
	v_lshlrev_b64_e32 v[12:13], 2, v[3:4]
	v_add_co_u32 v12, s0, s8, v12
	s_wait_alu 0xf1ff
	s_delay_alu instid0(VALU_DEP_2)
	v_add_co_ci_u32_e64 v13, s0, s9, v13, s0
	global_load_b32 v12, v[12:13], off offset:1040
	ds_load_b32 v13, v14 offset:1080
	s_wait_dscnt 0x0
	v_lshrrev_b32_e32 v15, 16, v13
	v_sub_f16_e32 v16, v8, v13
	v_add_f16_e32 v8, v13, v8
	s_delay_alu instid0(VALU_DEP_3) | instskip(SKIP_1) | instid1(VALU_DEP_4)
	v_add_f16_e32 v17, v15, v11
	v_sub_f16_e32 v11, v11, v15
	v_mul_f16_e32 v16, 0.5, v16
	s_delay_alu instid0(VALU_DEP_3) | instskip(NEXT) | instid1(VALU_DEP_3)
	v_mul_f16_e32 v17, 0.5, v17
	v_mul_f16_e32 v11, 0.5, v11
	s_wait_loadcnt 0x0
	v_lshrrev_b32_e32 v15, 16, v12
	s_delay_alu instid0(VALU_DEP_1) | instskip(NEXT) | instid1(VALU_DEP_3)
	v_mul_f16_e32 v13, v15, v16
	v_fma_f16 v18, v17, v15, v11
	v_fma_f16 v11, v17, v15, -v11
	s_delay_alu instid0(VALU_DEP_3) | instskip(SKIP_1) | instid1(VALU_DEP_4)
	v_fma_f16 v15, 0.5, v8, v13
	v_fma_f16 v8, v8, 0.5, -v13
	v_fma_f16 v18, -v12, v16, v18
	s_delay_alu instid0(VALU_DEP_4)
	v_fma_f16 v11, -v12, v16, v11
	ds_store_b16 v23, v18 offset:2
	ds_store_b16 v14, v11 offset:1082
	v_fmac_f16_e32 v15, v12, v17
	v_fma_f16 v16, -v12, v17, v8
	v_dual_mov_b32 v13, v4 :: v_dual_mov_b32 v12, v3
                                        ; implicit-def: $vgpr11
                                        ; implicit-def: $vgpr8
.LBB0_27:
	s_wait_alu 0xfffe
	s_and_not1_saveexec_b32 s0, s1
	s_cbranch_execz .LBB0_29
; %bb.28:
	v_mov_b32_e32 v4, 0
	v_mov_b32_e32 v12, 0
	;; [unrolled: 1-line block ×3, first 2 shown]
	v_add_f16_e32 v15, v11, v8
	v_sub_f16_e32 v16, v8, v11
	ds_store_b16 v23, v4 offset:2
	ds_store_b16 v14, v4 offset:1082
	ds_load_u16 v4, v0 offset:542
	s_wait_dscnt 0x0
	v_xor_b32_e32 v4, 0x8000, v4
	ds_store_b16 v0, v4 offset:542
.LBB0_29:
	s_wait_alu 0xfffe
	s_or_b32 exec_lo, exec_lo, s0
	v_mov_b32_e32 v8, 0
	s_delay_alu instid0(VALU_DEP_1) | instskip(SKIP_1) | instid1(VALU_DEP_1)
	v_lshlrev_b64_e32 v[17:18], 2, v[7:8]
	v_mov_b32_e32 v11, v8
	v_lshlrev_b64_e32 v[10:11], 2, v[10:11]
	s_delay_alu instid0(VALU_DEP_3) | instskip(SKIP_1) | instid1(VALU_DEP_4)
	v_add_co_u32 v17, s0, s8, v17
	s_wait_alu 0xf1ff
	v_add_co_ci_u32_e64 v18, s0, s9, v18, s0
	s_delay_alu instid0(VALU_DEP_3)
	v_add_co_u32 v10, s0, s8, v10
	global_load_b32 v4, v[17:18], off offset:1040
	s_wait_alu 0xf1ff
	v_add_co_ci_u32_e64 v11, s0, s9, v11, s0
	global_load_b32 v7, v[10:11], off offset:1040
	v_mov_b32_e32 v10, v8
	s_delay_alu instid0(VALU_DEP_1) | instskip(SKIP_1) | instid1(VALU_DEP_2)
	v_lshlrev_b64_e32 v[10:11], 2, v[9:10]
	v_lshl_add_u32 v9, v9, 2, v0
	v_add_co_u32 v10, s0, s8, v10
	s_wait_alu 0xf1ff
	s_delay_alu instid0(VALU_DEP_3) | instskip(SKIP_4) | instid1(VALU_DEP_1)
	v_add_co_ci_u32_e64 v11, s0, s9, v11, s0
	s_add_nc_u64 s[0:1], s[8:9], 0x410
	global_load_b32 v17, v[10:11], off offset:1040
	v_lshlrev_b64_e32 v[10:11], 2, v[12:13]
	s_wait_alu 0xfffe
	v_add_co_u32 v10, s0, s0, v10
	s_wait_alu 0xf1ff
	s_delay_alu instid0(VALU_DEP_2)
	v_add_co_ci_u32_e64 v11, s0, s1, v11, s0
	global_load_b32 v10, v[10:11], off offset:432
	ds_store_b16 v23, v15
	ds_store_b16 v14, v16 offset:1080
	ds_load_b32 v11, v25
	ds_load_b32 v12, v14 offset:972
	s_wait_dscnt 0x0
	v_pk_add_f16 v13, v11, v12 neg_lo:[0,1] neg_hi:[0,1]
	v_pk_add_f16 v11, v11, v12
	s_delay_alu instid0(VALU_DEP_1) | instskip(SKIP_1) | instid1(VALU_DEP_2)
	v_bfi_b32 v12, 0xffff, v13, v11
	v_bfi_b32 v11, 0xffff, v11, v13
	v_pk_mul_f16 v12, v12, 0.5 op_sel_hi:[1,0]
	s_delay_alu instid0(VALU_DEP_2) | instskip(SKIP_1) | instid1(VALU_DEP_1)
	v_pk_mul_f16 v11, v11, 0.5 op_sel_hi:[1,0]
	s_wait_loadcnt 0x3
	v_pk_fma_f16 v13, v4, v12, v11 op_sel:[1,0,0]
	v_pk_mul_f16 v15, v4, v12 op_sel_hi:[0,1]
	v_pk_fma_f16 v16, v4, v12, v11 op_sel:[1,0,0] neg_lo:[1,0,0] neg_hi:[1,0,0]
	v_pk_fma_f16 v4, v4, v12, v11 op_sel:[1,0,0] neg_lo:[0,0,1] neg_hi:[0,0,1]
	s_delay_alu instid0(VALU_DEP_3) | instskip(SKIP_1) | instid1(VALU_DEP_4)
	v_pk_add_f16 v11, v13, v15 op_sel:[0,1] op_sel_hi:[1,0]
	v_pk_add_f16 v12, v13, v15 op_sel:[0,1] op_sel_hi:[1,0] neg_lo:[0,1] neg_hi:[0,1]
	v_pk_add_f16 v13, v16, v15 op_sel:[0,1] op_sel_hi:[1,0] neg_lo:[0,1] neg_hi:[0,1]
	s_delay_alu instid0(VALU_DEP_4) | instskip(NEXT) | instid1(VALU_DEP_3)
	v_pk_add_f16 v4, v4, v15 op_sel:[0,1] op_sel_hi:[1,0] neg_lo:[0,1] neg_hi:[0,1]
	v_bfi_b32 v11, 0xffff, v11, v12
	s_delay_alu instid0(VALU_DEP_2)
	v_bfi_b32 v4, 0xffff, v13, v4
	ds_store_b32 v25, v11
	ds_store_b32 v14, v4 offset:972
	ds_load_b32 v4, v24
	ds_load_b32 v11, v14 offset:864
	s_wait_dscnt 0x0
	v_pk_add_f16 v12, v4, v11 neg_lo:[0,1] neg_hi:[0,1]
	v_pk_add_f16 v4, v4, v11
	s_delay_alu instid0(VALU_DEP_1) | instskip(SKIP_1) | instid1(VALU_DEP_2)
	v_bfi_b32 v11, 0xffff, v12, v4
	v_bfi_b32 v4, 0xffff, v4, v12
	v_pk_mul_f16 v11, v11, 0.5 op_sel_hi:[1,0]
	s_delay_alu instid0(VALU_DEP_2) | instskip(SKIP_1) | instid1(VALU_DEP_2)
	v_pk_mul_f16 v4, v4, 0.5 op_sel_hi:[1,0]
	s_wait_loadcnt 0x2
	v_pk_mul_f16 v13, v7, v11 op_sel_hi:[0,1]
	s_delay_alu instid0(VALU_DEP_2) | instskip(SKIP_2) | instid1(VALU_DEP_3)
	v_pk_fma_f16 v12, v7, v11, v4 op_sel:[1,0,0]
	v_pk_fma_f16 v15, v7, v11, v4 op_sel:[1,0,0] neg_lo:[1,0,0] neg_hi:[1,0,0]
	v_pk_fma_f16 v4, v7, v11, v4 op_sel:[1,0,0] neg_lo:[0,0,1] neg_hi:[0,0,1]
	v_pk_add_f16 v7, v12, v13 op_sel:[0,1] op_sel_hi:[1,0]
	v_pk_add_f16 v11, v12, v13 op_sel:[0,1] op_sel_hi:[1,0] neg_lo:[0,1] neg_hi:[0,1]
	s_delay_alu instid0(VALU_DEP_4) | instskip(NEXT) | instid1(VALU_DEP_4)
	v_pk_add_f16 v12, v15, v13 op_sel:[0,1] op_sel_hi:[1,0] neg_lo:[0,1] neg_hi:[0,1]
	v_pk_add_f16 v4, v4, v13 op_sel:[0,1] op_sel_hi:[1,0] neg_lo:[0,1] neg_hi:[0,1]
	s_delay_alu instid0(VALU_DEP_3) | instskip(NEXT) | instid1(VALU_DEP_2)
	v_bfi_b32 v7, 0xffff, v7, v11
	v_bfi_b32 v4, 0xffff, v12, v4
	ds_store_b32 v24, v7
	ds_store_b32 v14, v4 offset:864
	ds_load_b32 v4, v9
	ds_load_b32 v7, v14 offset:756
	s_wait_dscnt 0x0
	v_pk_add_f16 v11, v4, v7 neg_lo:[0,1] neg_hi:[0,1]
	v_pk_add_f16 v4, v4, v7
	s_delay_alu instid0(VALU_DEP_1) | instskip(SKIP_1) | instid1(VALU_DEP_2)
	v_bfi_b32 v7, 0xffff, v11, v4
	v_bfi_b32 v4, 0xffff, v4, v11
	v_pk_mul_f16 v7, v7, 0.5 op_sel_hi:[1,0]
	s_delay_alu instid0(VALU_DEP_2) | instskip(SKIP_1) | instid1(VALU_DEP_2)
	v_pk_mul_f16 v4, v4, 0.5 op_sel_hi:[1,0]
	s_wait_loadcnt 0x1
	v_pk_mul_f16 v12, v17, v7 op_sel_hi:[0,1]
	s_delay_alu instid0(VALU_DEP_2) | instskip(SKIP_2) | instid1(VALU_DEP_3)
	v_pk_fma_f16 v11, v17, v7, v4 op_sel:[1,0,0]
	v_pk_fma_f16 v13, v17, v7, v4 op_sel:[1,0,0] neg_lo:[1,0,0] neg_hi:[1,0,0]
	v_pk_fma_f16 v4, v17, v7, v4 op_sel:[1,0,0] neg_lo:[0,0,1] neg_hi:[0,0,1]
	v_pk_add_f16 v7, v11, v12 op_sel:[0,1] op_sel_hi:[1,0]
	v_pk_add_f16 v11, v11, v12 op_sel:[0,1] op_sel_hi:[1,0] neg_lo:[0,1] neg_hi:[0,1]
	s_delay_alu instid0(VALU_DEP_4) | instskip(NEXT) | instid1(VALU_DEP_4)
	v_pk_add_f16 v13, v13, v12 op_sel:[0,1] op_sel_hi:[1,0] neg_lo:[0,1] neg_hi:[0,1]
	v_pk_add_f16 v4, v4, v12 op_sel:[0,1] op_sel_hi:[1,0] neg_lo:[0,1] neg_hi:[0,1]
	s_delay_alu instid0(VALU_DEP_3) | instskip(NEXT) | instid1(VALU_DEP_2)
	v_bfi_b32 v7, 0xffff, v7, v11
	v_bfi_b32 v4, 0xffff, v13, v4
	ds_store_b32 v9, v7
	ds_store_b32 v14, v4 offset:756
	ds_load_b32 v4, v23 offset:432
	ds_load_b32 v7, v14 offset:648
	s_wait_dscnt 0x0
	v_pk_add_f16 v9, v4, v7 neg_lo:[0,1] neg_hi:[0,1]
	v_pk_add_f16 v4, v4, v7
	s_delay_alu instid0(VALU_DEP_1) | instskip(SKIP_1) | instid1(VALU_DEP_2)
	v_bfi_b32 v7, 0xffff, v9, v4
	v_bfi_b32 v4, 0xffff, v4, v9
	v_pk_mul_f16 v7, v7, 0.5 op_sel_hi:[1,0]
	s_delay_alu instid0(VALU_DEP_2) | instskip(SKIP_1) | instid1(VALU_DEP_2)
	v_pk_mul_f16 v4, v4, 0.5 op_sel_hi:[1,0]
	s_wait_loadcnt 0x0
	v_pk_mul_f16 v11, v10, v7 op_sel_hi:[0,1]
	s_delay_alu instid0(VALU_DEP_2) | instskip(SKIP_2) | instid1(VALU_DEP_3)
	v_pk_fma_f16 v9, v10, v7, v4 op_sel:[1,0,0]
	v_pk_fma_f16 v12, v10, v7, v4 op_sel:[1,0,0] neg_lo:[1,0,0] neg_hi:[1,0,0]
	v_pk_fma_f16 v4, v10, v7, v4 op_sel:[1,0,0] neg_lo:[0,0,1] neg_hi:[0,0,1]
	v_pk_add_f16 v7, v9, v11 op_sel:[0,1] op_sel_hi:[1,0]
	v_pk_add_f16 v9, v9, v11 op_sel:[0,1] op_sel_hi:[1,0] neg_lo:[0,1] neg_hi:[0,1]
	s_delay_alu instid0(VALU_DEP_4) | instskip(NEXT) | instid1(VALU_DEP_4)
	v_pk_add_f16 v10, v12, v11 op_sel:[0,1] op_sel_hi:[1,0] neg_lo:[0,1] neg_hi:[0,1]
	v_pk_add_f16 v4, v4, v11 op_sel:[0,1] op_sel_hi:[1,0] neg_lo:[0,1] neg_hi:[0,1]
	s_delay_alu instid0(VALU_DEP_3) | instskip(NEXT) | instid1(VALU_DEP_2)
	v_bfi_b32 v7, 0xffff, v7, v9
	v_bfi_b32 v4, 0xffff, v10, v4
	ds_store_b32 v23, v7 offset:432
	ds_store_b32 v14, v4 offset:648
	global_wb scope:SCOPE_SE
	s_wait_dscnt 0x0
	s_barrier_signal -1
	s_barrier_wait -1
	global_inv scope:SCOPE_SE
	s_and_saveexec_b32 s0, vcc_lo
	s_cbranch_execz .LBB0_32
; %bb.30:
	v_mul_lo_u32 v4, s3, v5
	v_mul_lo_u32 v6, s2, v6
	v_mad_co_u64_u32 v[9:10], null, s2, v5, 0
	v_lshl_add_u32 v5, v3, 2, v0
	v_lshlrev_b64_e32 v[0:1], 2, v[1:2]
	v_add_nc_u32_e32 v7, 27, v3
	ds_load_2addr_b32 v[11:12], v5 offset1:27
	v_add3_u32 v10, v10, v6, v4
	v_mov_b32_e32 v4, v8
	ds_load_2addr_b32 v[17:18], v5 offset0:54 offset1:81
	v_lshlrev_b64_e32 v[15:16], 2, v[7:8]
	v_add_nc_u32_e32 v7, 54, v3
	v_lshlrev_b64_e32 v[9:10], 2, v[9:10]
	v_lshlrev_b64_e32 v[13:14], 2, v[3:4]
	ds_load_2addr_b32 v[23:24], v5 offset0:108 offset1:135
	ds_load_2addr_b32 v[29:30], v5 offset0:162 offset1:189
	;; [unrolled: 1-line block ×3, first 2 shown]
	v_add_co_u32 v2, vcc_lo, s6, v9
	s_wait_alu 0xfffd
	v_add_co_ci_u32_e32 v4, vcc_lo, s7, v10, vcc_lo
	v_lshlrev_b64_e32 v[9:10], 2, v[7:8]
	v_add_nc_u32_e32 v7, 0x51, v3
	v_add_co_u32 v0, vcc_lo, v2, v0
	s_wait_alu 0xfffd
	v_add_co_ci_u32_e32 v1, vcc_lo, v4, v1, vcc_lo
	s_delay_alu instid0(VALU_DEP_3) | instskip(SKIP_4) | instid1(VALU_DEP_3)
	v_lshlrev_b64_e32 v[19:20], 2, v[7:8]
	v_add_nc_u32_e32 v7, 0x6c, v3
	v_add_co_u32 v13, vcc_lo, v0, v13
	s_wait_alu 0xfffd
	v_add_co_ci_u32_e32 v14, vcc_lo, v1, v14, vcc_lo
	v_lshlrev_b64_e32 v[21:22], 2, v[7:8]
	v_add_nc_u32_e32 v7, 0x87, v3
	v_add_co_u32 v15, vcc_lo, v0, v15
	s_wait_alu 0xfffd
	v_add_co_ci_u32_e32 v16, vcc_lo, v1, v16, vcc_lo
	s_delay_alu instid0(VALU_DEP_3) | instskip(SKIP_4) | instid1(VALU_DEP_3)
	v_lshlrev_b64_e32 v[25:26], 2, v[7:8]
	v_add_nc_u32_e32 v7, 0xa2, v3
	v_add_co_u32 v9, vcc_lo, v0, v9
	s_wait_alu 0xfffd
	v_add_co_ci_u32_e32 v10, vcc_lo, v1, v10, vcc_lo
	v_lshlrev_b64_e32 v[27:28], 2, v[7:8]
	v_add_nc_u32_e32 v7, 0xbd, v3
	v_add_co_u32 v19, vcc_lo, v0, v19
	s_wait_alu 0xfffd
	v_add_co_ci_u32_e32 v20, vcc_lo, v1, v20, vcc_lo
	s_delay_alu instid0(VALU_DEP_3)
	v_lshlrev_b64_e32 v[31:32], 2, v[7:8]
	v_add_nc_u32_e32 v7, 0xd8, v3
	v_add_co_u32 v21, vcc_lo, v0, v21
	s_wait_alu 0xfffd
	v_add_co_ci_u32_e32 v22, vcc_lo, v1, v22, vcc_lo
	v_add_co_u32 v25, vcc_lo, v0, v25
	v_lshlrev_b64_e32 v[35:36], 2, v[7:8]
	v_add_nc_u32_e32 v7, 0xf3, v3
	s_wait_alu 0xfffd
	v_add_co_ci_u32_e32 v26, vcc_lo, v1, v26, vcc_lo
	v_add_co_u32 v27, vcc_lo, v0, v27
	s_wait_alu 0xfffd
	v_add_co_ci_u32_e32 v28, vcc_lo, v1, v28, vcc_lo
	v_add_co_u32 v31, vcc_lo, v0, v31
	v_lshlrev_b64_e32 v[6:7], 2, v[7:8]
	s_wait_alu 0xfffd
	v_add_co_ci_u32_e32 v32, vcc_lo, v1, v32, vcc_lo
	v_add_co_u32 v35, vcc_lo, v0, v35
	s_wait_alu 0xfffd
	v_add_co_ci_u32_e32 v36, vcc_lo, v1, v36, vcc_lo
	v_add_co_u32 v6, vcc_lo, v0, v6
	s_wait_alu 0xfffd
	v_add_co_ci_u32_e32 v7, vcc_lo, v1, v7, vcc_lo
	v_cmp_eq_u32_e32 vcc_lo, 26, v3
	s_wait_dscnt 0x4
	s_clause 0x1
	global_store_b32 v[13:14], v11, off
	global_store_b32 v[15:16], v12, off
	s_wait_dscnt 0x3
	s_clause 0x1
	global_store_b32 v[9:10], v17, off
	global_store_b32 v[19:20], v18, off
	;; [unrolled: 4-line block ×5, first 2 shown]
	s_and_b32 exec_lo, exec_lo, vcc_lo
	s_cbranch_execz .LBB0_32
; %bb.31:
	ds_load_b32 v2, v5 offset:976
	s_wait_dscnt 0x0
	global_store_b32 v[0:1], v2, off offset:1080
.LBB0_32:
	s_nop 0
	s_sendmsg sendmsg(MSG_DEALLOC_VGPRS)
	s_endpgm
	.section	.rodata,"a",@progbits
	.p2align	6, 0x0
	.amdhsa_kernel fft_rtc_back_len270_factors_10_3_3_3_wgs_108_tpt_27_halfLds_half_op_CI_CI_unitstride_sbrr_R2C_dirReg
		.amdhsa_group_segment_fixed_size 0
		.amdhsa_private_segment_fixed_size 0
		.amdhsa_kernarg_size 104
		.amdhsa_user_sgpr_count 2
		.amdhsa_user_sgpr_dispatch_ptr 0
		.amdhsa_user_sgpr_queue_ptr 0
		.amdhsa_user_sgpr_kernarg_segment_ptr 1
		.amdhsa_user_sgpr_dispatch_id 0
		.amdhsa_user_sgpr_private_segment_size 0
		.amdhsa_wavefront_size32 1
		.amdhsa_uses_dynamic_stack 0
		.amdhsa_enable_private_segment 0
		.amdhsa_system_sgpr_workgroup_id_x 1
		.amdhsa_system_sgpr_workgroup_id_y 0
		.amdhsa_system_sgpr_workgroup_id_z 0
		.amdhsa_system_sgpr_workgroup_info 0
		.amdhsa_system_vgpr_workitem_id 0
		.amdhsa_next_free_vgpr 70
		.amdhsa_next_free_sgpr 39
		.amdhsa_reserve_vcc 1
		.amdhsa_float_round_mode_32 0
		.amdhsa_float_round_mode_16_64 0
		.amdhsa_float_denorm_mode_32 3
		.amdhsa_float_denorm_mode_16_64 3
		.amdhsa_fp16_overflow 0
		.amdhsa_workgroup_processor_mode 1
		.amdhsa_memory_ordered 1
		.amdhsa_forward_progress 0
		.amdhsa_round_robin_scheduling 0
		.amdhsa_exception_fp_ieee_invalid_op 0
		.amdhsa_exception_fp_denorm_src 0
		.amdhsa_exception_fp_ieee_div_zero 0
		.amdhsa_exception_fp_ieee_overflow 0
		.amdhsa_exception_fp_ieee_underflow 0
		.amdhsa_exception_fp_ieee_inexact 0
		.amdhsa_exception_int_div_zero 0
	.end_amdhsa_kernel
	.text
.Lfunc_end0:
	.size	fft_rtc_back_len270_factors_10_3_3_3_wgs_108_tpt_27_halfLds_half_op_CI_CI_unitstride_sbrr_R2C_dirReg, .Lfunc_end0-fft_rtc_back_len270_factors_10_3_3_3_wgs_108_tpt_27_halfLds_half_op_CI_CI_unitstride_sbrr_R2C_dirReg
                                        ; -- End function
	.section	.AMDGPU.csdata,"",@progbits
; Kernel info:
; codeLenInByte = 8660
; NumSgprs: 41
; NumVgprs: 70
; ScratchSize: 0
; MemoryBound: 0
; FloatMode: 240
; IeeeMode: 1
; LDSByteSize: 0 bytes/workgroup (compile time only)
; SGPRBlocks: 5
; VGPRBlocks: 8
; NumSGPRsForWavesPerEU: 41
; NumVGPRsForWavesPerEU: 70
; Occupancy: 16
; WaveLimiterHint : 1
; COMPUTE_PGM_RSRC2:SCRATCH_EN: 0
; COMPUTE_PGM_RSRC2:USER_SGPR: 2
; COMPUTE_PGM_RSRC2:TRAP_HANDLER: 0
; COMPUTE_PGM_RSRC2:TGID_X_EN: 1
; COMPUTE_PGM_RSRC2:TGID_Y_EN: 0
; COMPUTE_PGM_RSRC2:TGID_Z_EN: 0
; COMPUTE_PGM_RSRC2:TIDIG_COMP_CNT: 0
	.text
	.p2alignl 7, 3214868480
	.fill 96, 4, 3214868480
	.type	__hip_cuid_6d11fa3e57b349ca,@object ; @__hip_cuid_6d11fa3e57b349ca
	.section	.bss,"aw",@nobits
	.globl	__hip_cuid_6d11fa3e57b349ca
__hip_cuid_6d11fa3e57b349ca:
	.byte	0                               ; 0x0
	.size	__hip_cuid_6d11fa3e57b349ca, 1

	.ident	"AMD clang version 19.0.0git (https://github.com/RadeonOpenCompute/llvm-project roc-6.4.0 25133 c7fe45cf4b819c5991fe208aaa96edf142730f1d)"
	.section	".note.GNU-stack","",@progbits
	.addrsig
	.addrsig_sym __hip_cuid_6d11fa3e57b349ca
	.amdgpu_metadata
---
amdhsa.kernels:
  - .args:
      - .actual_access:  read_only
        .address_space:  global
        .offset:         0
        .size:           8
        .value_kind:     global_buffer
      - .offset:         8
        .size:           8
        .value_kind:     by_value
      - .actual_access:  read_only
        .address_space:  global
        .offset:         16
        .size:           8
        .value_kind:     global_buffer
      - .actual_access:  read_only
        .address_space:  global
        .offset:         24
        .size:           8
        .value_kind:     global_buffer
      - .actual_access:  read_only
        .address_space:  global
        .offset:         32
        .size:           8
        .value_kind:     global_buffer
      - .offset:         40
        .size:           8
        .value_kind:     by_value
      - .actual_access:  read_only
        .address_space:  global
        .offset:         48
        .size:           8
        .value_kind:     global_buffer
      - .actual_access:  read_only
        .address_space:  global
        .offset:         56
        .size:           8
        .value_kind:     global_buffer
      - .offset:         64
        .size:           4
        .value_kind:     by_value
      - .actual_access:  read_only
        .address_space:  global
        .offset:         72
        .size:           8
        .value_kind:     global_buffer
      - .actual_access:  read_only
        .address_space:  global
        .offset:         80
        .size:           8
        .value_kind:     global_buffer
      - .actual_access:  read_only
        .address_space:  global
        .offset:         88
        .size:           8
        .value_kind:     global_buffer
      - .actual_access:  write_only
        .address_space:  global
        .offset:         96
        .size:           8
        .value_kind:     global_buffer
    .group_segment_fixed_size: 0
    .kernarg_segment_align: 8
    .kernarg_segment_size: 104
    .language:       OpenCL C
    .language_version:
      - 2
      - 0
    .max_flat_workgroup_size: 108
    .name:           fft_rtc_back_len270_factors_10_3_3_3_wgs_108_tpt_27_halfLds_half_op_CI_CI_unitstride_sbrr_R2C_dirReg
    .private_segment_fixed_size: 0
    .sgpr_count:     41
    .sgpr_spill_count: 0
    .symbol:         fft_rtc_back_len270_factors_10_3_3_3_wgs_108_tpt_27_halfLds_half_op_CI_CI_unitstride_sbrr_R2C_dirReg.kd
    .uniform_work_group_size: 1
    .uses_dynamic_stack: false
    .vgpr_count:     70
    .vgpr_spill_count: 0
    .wavefront_size: 32
    .workgroup_processor_mode: 1
amdhsa.target:   amdgcn-amd-amdhsa--gfx1201
amdhsa.version:
  - 1
  - 2
...

	.end_amdgpu_metadata
